;; amdgpu-corpus repo=ROCm/rocFFT kind=compiled arch=gfx906 opt=O3
	.text
	.amdgcn_target "amdgcn-amd-amdhsa--gfx906"
	.amdhsa_code_object_version 6
	.protected	fft_rtc_back_len270_factors_10_3_3_3_wgs_108_tpt_27_halfLds_sp_ip_CI_unitstride_sbrr_C2R_dirReg ; -- Begin function fft_rtc_back_len270_factors_10_3_3_3_wgs_108_tpt_27_halfLds_sp_ip_CI_unitstride_sbrr_C2R_dirReg
	.globl	fft_rtc_back_len270_factors_10_3_3_3_wgs_108_tpt_27_halfLds_sp_ip_CI_unitstride_sbrr_C2R_dirReg
	.p2align	8
	.type	fft_rtc_back_len270_factors_10_3_3_3_wgs_108_tpt_27_halfLds_sp_ip_CI_unitstride_sbrr_C2R_dirReg,@function
fft_rtc_back_len270_factors_10_3_3_3_wgs_108_tpt_27_halfLds_sp_ip_CI_unitstride_sbrr_C2R_dirReg: ; @fft_rtc_back_len270_factors_10_3_3_3_wgs_108_tpt_27_halfLds_sp_ip_CI_unitstride_sbrr_C2R_dirReg
; %bb.0:
	s_load_dwordx2 s[12:13], s[4:5], 0x50
	s_load_dwordx4 s[8:11], s[4:5], 0x0
	s_load_dwordx2 s[2:3], s[4:5], 0x18
	v_mul_u32_u24_e32 v1, 0x97c, v0
	v_lshrrev_b32_e32 v9, 16, v1
	v_mov_b32_e32 v3, 0
	s_waitcnt lgkmcnt(0)
	v_cmp_lt_u64_e64 s[0:1], s[10:11], 2
	v_mov_b32_e32 v1, 0
	v_lshl_add_u32 v5, s6, 2, v9
	v_mov_b32_e32 v6, v3
	s_and_b64 vcc, exec, s[0:1]
	v_mov_b32_e32 v2, 0
	s_cbranch_vccnz .LBB0_8
; %bb.1:
	s_load_dwordx2 s[0:1], s[4:5], 0x10
	s_add_u32 s6, s2, 8
	s_addc_u32 s7, s3, 0
	v_mov_b32_e32 v1, 0
	v_mov_b32_e32 v2, 0
	s_waitcnt lgkmcnt(0)
	s_add_u32 s14, s0, 8
	s_addc_u32 s15, s1, 0
	s_mov_b64 s[16:17], 1
.LBB0_2:                                ; =>This Inner Loop Header: Depth=1
	s_load_dwordx2 s[18:19], s[14:15], 0x0
                                        ; implicit-def: $vgpr7_vgpr8
	s_waitcnt lgkmcnt(0)
	v_or_b32_e32 v4, s19, v6
	v_cmp_ne_u64_e32 vcc, 0, v[3:4]
	s_and_saveexec_b64 s[0:1], vcc
	s_xor_b64 s[20:21], exec, s[0:1]
	s_cbranch_execz .LBB0_4
; %bb.3:                                ;   in Loop: Header=BB0_2 Depth=1
	v_cvt_f32_u32_e32 v4, s18
	v_cvt_f32_u32_e32 v7, s19
	s_sub_u32 s0, 0, s18
	s_subb_u32 s1, 0, s19
	v_mac_f32_e32 v4, 0x4f800000, v7
	v_rcp_f32_e32 v4, v4
	v_mul_f32_e32 v4, 0x5f7ffffc, v4
	v_mul_f32_e32 v7, 0x2f800000, v4
	v_trunc_f32_e32 v7, v7
	v_mac_f32_e32 v4, 0xcf800000, v7
	v_cvt_u32_f32_e32 v7, v7
	v_cvt_u32_f32_e32 v4, v4
	v_mul_lo_u32 v8, s0, v7
	v_mul_hi_u32 v10, s0, v4
	v_mul_lo_u32 v12, s1, v4
	v_mul_lo_u32 v11, s0, v4
	v_add_u32_e32 v8, v10, v8
	v_add_u32_e32 v8, v8, v12
	v_mul_hi_u32 v10, v4, v11
	v_mul_lo_u32 v12, v4, v8
	v_mul_hi_u32 v14, v4, v8
	v_mul_hi_u32 v13, v7, v11
	v_mul_lo_u32 v11, v7, v11
	v_mul_hi_u32 v15, v7, v8
	v_add_co_u32_e32 v10, vcc, v10, v12
	v_addc_co_u32_e32 v12, vcc, 0, v14, vcc
	v_mul_lo_u32 v8, v7, v8
	v_add_co_u32_e32 v10, vcc, v10, v11
	v_addc_co_u32_e32 v10, vcc, v12, v13, vcc
	v_addc_co_u32_e32 v11, vcc, 0, v15, vcc
	v_add_co_u32_e32 v8, vcc, v10, v8
	v_addc_co_u32_e32 v10, vcc, 0, v11, vcc
	v_add_co_u32_e32 v4, vcc, v4, v8
	v_addc_co_u32_e32 v7, vcc, v7, v10, vcc
	v_mul_lo_u32 v8, s0, v7
	v_mul_hi_u32 v10, s0, v4
	v_mul_lo_u32 v11, s1, v4
	v_mul_lo_u32 v12, s0, v4
	v_add_u32_e32 v8, v10, v8
	v_add_u32_e32 v8, v8, v11
	v_mul_lo_u32 v13, v4, v8
	v_mul_hi_u32 v14, v4, v12
	v_mul_hi_u32 v15, v4, v8
	;; [unrolled: 1-line block ×3, first 2 shown]
	v_mul_lo_u32 v12, v7, v12
	v_mul_hi_u32 v10, v7, v8
	v_add_co_u32_e32 v13, vcc, v14, v13
	v_addc_co_u32_e32 v14, vcc, 0, v15, vcc
	v_mul_lo_u32 v8, v7, v8
	v_add_co_u32_e32 v12, vcc, v13, v12
	v_addc_co_u32_e32 v11, vcc, v14, v11, vcc
	v_addc_co_u32_e32 v10, vcc, 0, v10, vcc
	v_add_co_u32_e32 v8, vcc, v11, v8
	v_addc_co_u32_e32 v10, vcc, 0, v10, vcc
	v_add_co_u32_e32 v4, vcc, v4, v8
	v_addc_co_u32_e32 v10, vcc, v7, v10, vcc
	v_mad_u64_u32 v[7:8], s[0:1], v5, v10, 0
	v_mul_hi_u32 v11, v5, v4
	v_add_co_u32_e32 v12, vcc, v11, v7
	v_addc_co_u32_e32 v13, vcc, 0, v8, vcc
	v_mad_u64_u32 v[7:8], s[0:1], v6, v4, 0
	v_mad_u64_u32 v[10:11], s[0:1], v6, v10, 0
	v_add_co_u32_e32 v4, vcc, v12, v7
	v_addc_co_u32_e32 v4, vcc, v13, v8, vcc
	v_addc_co_u32_e32 v7, vcc, 0, v11, vcc
	v_add_co_u32_e32 v4, vcc, v4, v10
	v_addc_co_u32_e32 v10, vcc, 0, v7, vcc
	v_mul_lo_u32 v11, s19, v4
	v_mul_lo_u32 v12, s18, v10
	v_mad_u64_u32 v[7:8], s[0:1], s18, v4, 0
	v_add3_u32 v8, v8, v12, v11
	v_sub_u32_e32 v11, v6, v8
	v_mov_b32_e32 v12, s19
	v_sub_co_u32_e32 v7, vcc, v5, v7
	v_subb_co_u32_e64 v11, s[0:1], v11, v12, vcc
	v_subrev_co_u32_e64 v12, s[0:1], s18, v7
	v_subbrev_co_u32_e64 v11, s[0:1], 0, v11, s[0:1]
	v_cmp_le_u32_e64 s[0:1], s19, v11
	v_cndmask_b32_e64 v13, 0, -1, s[0:1]
	v_cmp_le_u32_e64 s[0:1], s18, v12
	v_cndmask_b32_e64 v12, 0, -1, s[0:1]
	v_cmp_eq_u32_e64 s[0:1], s19, v11
	v_cndmask_b32_e64 v11, v13, v12, s[0:1]
	v_add_co_u32_e64 v12, s[0:1], 2, v4
	v_addc_co_u32_e64 v13, s[0:1], 0, v10, s[0:1]
	v_add_co_u32_e64 v14, s[0:1], 1, v4
	v_addc_co_u32_e64 v15, s[0:1], 0, v10, s[0:1]
	v_subb_co_u32_e32 v8, vcc, v6, v8, vcc
	v_cmp_ne_u32_e64 s[0:1], 0, v11
	v_cmp_le_u32_e32 vcc, s19, v8
	v_cndmask_b32_e64 v11, v15, v13, s[0:1]
	v_cndmask_b32_e64 v13, 0, -1, vcc
	v_cmp_le_u32_e32 vcc, s18, v7
	v_cndmask_b32_e64 v7, 0, -1, vcc
	v_cmp_eq_u32_e32 vcc, s19, v8
	v_cndmask_b32_e32 v7, v13, v7, vcc
	v_cmp_ne_u32_e32 vcc, 0, v7
	v_cndmask_b32_e64 v7, v14, v12, s[0:1]
	v_cndmask_b32_e32 v8, v10, v11, vcc
	v_cndmask_b32_e32 v7, v4, v7, vcc
.LBB0_4:                                ;   in Loop: Header=BB0_2 Depth=1
	s_andn2_saveexec_b64 s[0:1], s[20:21]
	s_cbranch_execz .LBB0_6
; %bb.5:                                ;   in Loop: Header=BB0_2 Depth=1
	v_cvt_f32_u32_e32 v4, s18
	s_sub_i32 s20, 0, s18
	v_rcp_iflag_f32_e32 v4, v4
	v_mul_f32_e32 v4, 0x4f7ffffe, v4
	v_cvt_u32_f32_e32 v4, v4
	v_mul_lo_u32 v7, s20, v4
	v_mul_hi_u32 v7, v4, v7
	v_add_u32_e32 v4, v4, v7
	v_mul_hi_u32 v4, v5, v4
	v_mul_lo_u32 v7, v4, s18
	v_add_u32_e32 v8, 1, v4
	v_sub_u32_e32 v7, v5, v7
	v_subrev_u32_e32 v10, s18, v7
	v_cmp_le_u32_e32 vcc, s18, v7
	v_cndmask_b32_e32 v7, v7, v10, vcc
	v_cndmask_b32_e32 v4, v4, v8, vcc
	v_add_u32_e32 v8, 1, v4
	v_cmp_le_u32_e32 vcc, s18, v7
	v_cndmask_b32_e32 v7, v4, v8, vcc
	v_mov_b32_e32 v8, v3
.LBB0_6:                                ;   in Loop: Header=BB0_2 Depth=1
	s_or_b64 exec, exec, s[0:1]
	v_mul_lo_u32 v4, v8, s18
	v_mul_lo_u32 v12, v7, s19
	v_mad_u64_u32 v[10:11], s[0:1], v7, s18, 0
	s_load_dwordx2 s[0:1], s[6:7], 0x0
	s_add_u32 s16, s16, 1
	v_add3_u32 v4, v11, v12, v4
	v_sub_co_u32_e32 v5, vcc, v5, v10
	v_subb_co_u32_e32 v4, vcc, v6, v4, vcc
	s_waitcnt lgkmcnt(0)
	v_mul_lo_u32 v4, s0, v4
	v_mul_lo_u32 v6, s1, v5
	v_mad_u64_u32 v[1:2], s[0:1], s0, v5, v[1:2]
	s_addc_u32 s17, s17, 0
	s_add_u32 s6, s6, 8
	v_add3_u32 v2, v6, v2, v4
	v_mov_b32_e32 v4, s10
	v_mov_b32_e32 v5, s11
	s_addc_u32 s7, s7, 0
	v_cmp_ge_u64_e32 vcc, s[16:17], v[4:5]
	s_add_u32 s14, s14, 8
	s_addc_u32 s15, s15, 0
	s_cbranch_vccnz .LBB0_9
; %bb.7:                                ;   in Loop: Header=BB0_2 Depth=1
	v_mov_b32_e32 v5, v7
	v_mov_b32_e32 v6, v8
	s_branch .LBB0_2
.LBB0_8:
	v_mov_b32_e32 v8, v6
	v_mov_b32_e32 v7, v5
.LBB0_9:
	s_lshl_b64 s[0:1], s[10:11], 3
	s_add_u32 s0, s2, s0
	s_addc_u32 s1, s3, s1
	s_load_dwordx2 s[2:3], s[0:1], 0x0
	s_load_dwordx2 s[6:7], s[4:5], 0x20
	s_waitcnt lgkmcnt(0)
	v_mad_u64_u32 v[3:4], s[0:1], s2, v7, v[1:2]
	v_mul_lo_u32 v5, s2, v8
	v_mul_lo_u32 v6, s3, v7
	s_mov_b32 s0, 0x97b425f
	v_and_b32_e32 v1, 3, v9
	v_mul_hi_u32 v9, v0, s0
	v_add3_u32 v4, v6, v4, v5
	v_mul_u32_u24_e32 v2, 0x10f, v1
	v_cmp_gt_u64_e32 vcc, s[6:7], v[7:8]
	v_mul_u32_u24_e32 v1, 27, v9
	v_lshlrev_b64 v[24:25], 3, v[3:4]
	v_sub_u32_e32 v22, v0, v1
	v_lshlrev_b32_e32 v31, 3, v2
	s_and_saveexec_b64 s[2:3], vcc
	s_cbranch_execz .LBB0_13
; %bb.10:
	v_mov_b32_e32 v23, 0
	v_mov_b32_e32 v1, s13
	v_add_co_u32_e64 v0, s[0:1], s12, v24
	v_lshlrev_b64 v[3:4], 3, v[22:23]
	v_addc_co_u32_e64 v1, s[0:1], v1, v25, s[0:1]
	v_add_co_u32_e64 v3, s[0:1], v0, v3
	v_addc_co_u32_e64 v4, s[0:1], v1, v4, s[0:1]
	global_load_dwordx2 v[5:6], v[3:4], off
	global_load_dwordx2 v[7:8], v[3:4], off offset:216
	global_load_dwordx2 v[9:10], v[3:4], off offset:432
	;; [unrolled: 1-line block ×9, first 2 shown]
	v_lshlrev_b32_e32 v3, 3, v22
	v_add3_u32 v3, 0, v31, v3
	v_cmp_eq_u32_e64 s[0:1], 26, v22
	s_waitcnt vmcnt(8)
	ds_write2_b64 v3, v[5:6], v[7:8] offset1:27
	s_waitcnt vmcnt(6)
	ds_write2_b64 v3, v[9:10], v[11:12] offset0:54 offset1:81
	s_waitcnt vmcnt(4)
	ds_write2_b64 v3, v[13:14], v[15:16] offset0:108 offset1:135
	s_waitcnt vmcnt(2)
	ds_write2_b64 v3, v[17:18], v[19:20] offset0:162 offset1:189
	s_waitcnt vmcnt(0)
	ds_write2_b64 v3, v[26:27], v[28:29] offset0:216 offset1:243
	s_and_saveexec_b64 s[4:5], s[0:1]
	s_cbranch_execz .LBB0_12
; %bb.11:
	global_load_dwordx2 v[0:1], v[0:1], off offset:2160
	v_mov_b32_e32 v22, 26
	s_waitcnt vmcnt(0)
	ds_write_b64 v3, v[0:1] offset:1952
.LBB0_12:
	s_or_b64 exec, exec, s[4:5]
.LBB0_13:
	s_or_b64 exec, exec, s[2:3]
	v_lshl_add_u32 v30, v2, 3, 0
	v_lshlrev_b32_e32 v0, 3, v22
	v_add_u32_e32 v32, v30, v0
	s_waitcnt lgkmcnt(0)
	s_barrier
	v_sub_u32_e32 v4, v30, v0
	ds_read_b32 v1, v32
	ds_read_b32 v2, v4 offset:2160
	v_cmp_ne_u32_e64 s[0:1], 0, v22
	s_waitcnt lgkmcnt(0)
	v_add_f32_e32 v0, v2, v1
	v_sub_f32_e32 v1, v1, v2
                                        ; implicit-def: $vgpr2_vgpr3
	s_and_saveexec_b64 s[2:3], s[0:1]
	s_xor_b64 s[2:3], exec, s[2:3]
	s_cbranch_execz .LBB0_15
; %bb.14:
	v_mov_b32_e32 v23, 0
	v_lshlrev_b64 v[2:3], 3, v[22:23]
	v_mov_b32_e32 v5, s9
	v_add_co_u32_e64 v2, s[0:1], s8, v2
	v_addc_co_u32_e64 v3, s[0:1], v5, v3, s[0:1]
	global_load_dwordx2 v[2:3], v[2:3], off offset:2080
	ds_read_b32 v5, v4 offset:2164
	ds_read_b32 v6, v32 offset:4
	s_waitcnt lgkmcnt(0)
	v_add_f32_e32 v9, v5, v6
	v_sub_f32_e32 v5, v6, v5
	s_waitcnt vmcnt(0)
	v_fma_f32 v10, v1, v3, v0
	v_fma_f32 v6, v9, v3, v5
	v_fma_f32 v7, -v1, v3, v0
	v_fma_f32 v8, v9, v3, -v5
	v_fma_f32 v5, -v2, v9, v10
	v_fmac_f32_e32 v6, v1, v2
	v_fmac_f32_e32 v7, v2, v9
	v_fmac_f32_e32 v8, v1, v2
	v_mov_b32_e32 v2, v22
	ds_write_b64 v32, v[5:6]
	ds_write_b64 v4, v[7:8] offset:2160
	v_mov_b32_e32 v3, v23
                                        ; implicit-def: $vgpr0
.LBB0_15:
	s_andn2_saveexec_b64 s[0:1], s[2:3]
	s_cbranch_execz .LBB0_17
; %bb.16:
	ds_write_b64 v32, v[0:1]
	ds_read_b64 v[0:1], v30 offset:1080
	v_mov_b32_e32 v2, 0
	v_mov_b32_e32 v3, 0
	s_waitcnt lgkmcnt(0)
	v_add_f32_e32 v0, v0, v0
	v_mul_f32_e32 v1, -2.0, v1
	ds_write_b64 v30, v[0:1] offset:1080
.LBB0_17:
	s_or_b64 exec, exec, s[0:1]
	s_add_u32 s0, s8, 0x820
	v_lshlrev_b64 v[0:1], 3, v[2:3]
	s_addc_u32 s1, s9, 0
	v_mov_b32_e32 v2, s1
	v_add_co_u32_e64 v0, s[0:1], s0, v0
	v_addc_co_u32_e64 v1, s[0:1], v2, v1, s[0:1]
	global_load_dwordx2 v[2:3], v[0:1], off offset:216
	global_load_dwordx2 v[5:6], v[0:1], off offset:432
	global_load_dwordx2 v[7:8], v[0:1], off offset:648
	global_load_dwordx2 v[9:10], v[0:1], off offset:864
	ds_read_b64 v[0:1], v32 offset:216
	ds_read_b64 v[11:12], v4 offset:1944
	v_lshl_add_u32 v20, v22, 3, 0
	v_add_u32_e32 v23, v20, v31
	s_movk_i32 s0, 0x48
	s_waitcnt lgkmcnt(0)
	v_add_f32_e32 v13, v0, v11
	v_add_f32_e32 v14, v12, v1
	v_sub_f32_e32 v15, v0, v11
	v_sub_f32_e32 v0, v1, v12
	s_waitcnt vmcnt(3)
	v_fma_f32 v16, v15, v3, v13
	v_fma_f32 v1, v14, v3, v0
	v_fma_f32 v11, -v15, v3, v13
	v_fma_f32 v12, v14, v3, -v0
	v_fma_f32 v0, -v2, v14, v16
	v_fmac_f32_e32 v1, v15, v2
	v_fmac_f32_e32 v11, v2, v14
	v_fmac_f32_e32 v12, v15, v2
	ds_write_b64 v32, v[0:1] offset:216
	ds_write_b64 v4, v[11:12] offset:1944
	ds_read_b64 v[0:1], v32 offset:432
	ds_read_b64 v[2:3], v4 offset:1728
	s_waitcnt lgkmcnt(0)
	v_add_f32_e32 v11, v0, v2
	v_add_f32_e32 v12, v3, v1
	v_sub_f32_e32 v13, v0, v2
	v_sub_f32_e32 v0, v1, v3
	s_waitcnt vmcnt(2)
	v_fma_f32 v14, v13, v6, v11
	v_fma_f32 v1, v12, v6, v0
	v_fma_f32 v2, -v13, v6, v11
	v_fma_f32 v3, v12, v6, -v0
	v_fma_f32 v0, -v5, v12, v14
	v_fmac_f32_e32 v1, v13, v5
	v_fmac_f32_e32 v2, v5, v12
	v_fmac_f32_e32 v3, v13, v5
	ds_write_b64 v32, v[0:1] offset:432
	ds_write_b64 v4, v[2:3] offset:1728
	ds_read_b64 v[0:1], v32 offset:648
	ds_read_b64 v[2:3], v4 offset:1512
	;; [unrolled: 18-line block ×3, first 2 shown]
	s_waitcnt lgkmcnt(0)
	v_add_f32_e32 v5, v0, v2
	v_add_f32_e32 v6, v3, v1
	v_sub_f32_e32 v7, v0, v2
	v_sub_f32_e32 v0, v1, v3
	s_waitcnt vmcnt(0)
	v_fma_f32 v8, v7, v10, v5
	v_fma_f32 v1, v6, v10, v0
	v_fma_f32 v2, -v7, v10, v5
	v_fma_f32 v3, v6, v10, -v0
	v_fma_f32 v0, -v9, v6, v8
	v_fmac_f32_e32 v1, v7, v9
	v_fmac_f32_e32 v2, v9, v6
	;; [unrolled: 1-line block ×3, first 2 shown]
	ds_write_b64 v32, v[0:1] offset:864
	ds_write_b64 v4, v[2:3] offset:1296
	s_waitcnt lgkmcnt(0)
	s_barrier
	s_barrier
	ds_read2_b64 v[0:3], v23 offset0:81 offset1:108
	ds_read2_b64 v[4:7], v23 offset0:135 offset1:162
	ds_read2_b64 v[8:11], v23 offset0:189 offset1:216
	ds_read_b64 v[16:17], v23 offset:1944
	ds_read2_b64 v[12:15], v23 offset0:27 offset1:54
	ds_read_b64 v[18:19], v32
	s_waitcnt lgkmcnt(4)
	v_add_f32_e32 v42, v2, v6
	s_waitcnt lgkmcnt(3)
	v_add_f32_e32 v21, v4, v8
	;; [unrolled: 2-line block ×3, first 2 shown]
	v_add_f32_e32 v27, v5, v9
	s_waitcnt lgkmcnt(0)
	v_add_f32_e32 v29, v18, v14
	v_add_f32_e32 v28, v1, v17
	v_sub_f32_e32 v34, v14, v2
	v_sub_f32_e32 v36, v2, v14
	v_add_f32_e32 v40, v12, v0
	v_sub_f32_e32 v45, v2, v6
	v_add_f32_e32 v2, v29, v2
	v_add_f32_e32 v37, v19, v15
	;; [unrolled: 1-line block ×3, first 2 shown]
	v_fma_f32 v21, -0.5, v21, v12
	v_fma_f32 v12, -0.5, v26, v12
	;; [unrolled: 1-line block ×4, first 2 shown]
	v_add_f32_e32 v2, v2, v6
	v_add_f32_e32 v28, v40, v4
	v_sub_f32_e32 v33, v15, v11
	v_add_f32_e32 v35, v14, v10
	v_sub_f32_e32 v14, v14, v10
	v_sub_f32_e32 v38, v15, v3
	v_add_f32_e32 v39, v15, v11
	v_sub_f32_e32 v15, v3, v15
	v_sub_f32_e32 v43, v3, v7
	v_add_f32_e32 v44, v3, v7
	v_add_f32_e32 v3, v37, v3
	v_sub_f32_e32 v37, v10, v6
	v_sub_f32_e32 v6, v6, v10
	v_add_f32_e32 v10, v2, v10
	v_add_f32_e32 v2, v28, v8
	v_sub_f32_e32 v47, v0, v4
	v_sub_f32_e32 v48, v4, v0
	;; [unrolled: 1-line block ×6, first 2 shown]
	v_add_f32_e32 v16, v2, v16
	v_add_f32_e32 v2, v34, v37
	v_fma_f32 v34, -0.5, v42, v18
	v_mov_b32_e32 v37, v34
	v_fmac_f32_e32 v37, 0xbf737871, v33
	v_fmac_f32_e32 v34, 0x3f737871, v33
	;; [unrolled: 1-line block ×6, first 2 shown]
	v_add_f32_e32 v2, v36, v6
	v_fma_f32 v6, -0.5, v35, v18
	v_mov_b32_e32 v18, v6
	v_fmac_f32_e32 v18, 0x3f737871, v43
	v_fmac_f32_e32 v6, 0xbf737871, v43
	;; [unrolled: 1-line block ×4, first 2 shown]
	v_fma_f32 v33, -0.5, v44, v19
	v_mov_b32_e32 v35, v33
	v_sub_f32_e32 v40, v11, v7
	v_fmac_f32_e32 v35, 0x3f737871, v14
	v_fmac_f32_e32 v33, 0xbf737871, v14
	v_add_f32_e32 v3, v3, v7
	v_add_f32_e32 v29, v41, v5
	v_sub_f32_e32 v7, v7, v11
	v_fmac_f32_e32 v18, 0x3e9e377a, v2
	v_fmac_f32_e32 v6, 0x3e9e377a, v2
	v_add_f32_e32 v2, v38, v40
	v_fmac_f32_e32 v35, 0x3f167918, v45
	v_fmac_f32_e32 v33, 0xbf167918, v45
	v_fmac_f32_e32 v19, -0.5, v39
	v_add_f32_e32 v11, v3, v11
	v_add_f32_e32 v3, v29, v9
	v_fmac_f32_e32 v35, 0x3e9e377a, v2
	v_fmac_f32_e32 v33, 0x3e9e377a, v2
	v_add_f32_e32 v2, v15, v7
	v_mov_b32_e32 v15, v19
	v_sub_f32_e32 v46, v1, v17
	v_sub_f32_e32 v27, v1, v5
	;; [unrolled: 1-line block ×6, first 2 shown]
	v_add_f32_e32 v17, v3, v17
	v_fmac_f32_e32 v15, 0xbf737871, v45
	v_fmac_f32_e32 v19, 0x3f737871, v45
	v_mov_b32_e32 v3, v21
	v_fmac_f32_e32 v15, 0x3f167918, v14
	v_fmac_f32_e32 v19, 0xbf167918, v14
	;; [unrolled: 1-line block ×4, first 2 shown]
	v_mov_b32_e32 v7, v12
	v_fmac_f32_e32 v15, 0x3e9e377a, v2
	v_fmac_f32_e32 v19, 0x3e9e377a, v2
	v_add_f32_e32 v2, v47, v28
	v_fmac_f32_e32 v3, 0xbf167918, v5
	v_fmac_f32_e32 v21, 0x3f167918, v5
	;; [unrolled: 1-line block ×4, first 2 shown]
	v_mov_b32_e32 v5, v26
	v_fmac_f32_e32 v3, 0x3e9e377a, v2
	v_fmac_f32_e32 v21, 0x3e9e377a, v2
	v_add_f32_e32 v2, v48, v8
	v_fmac_f32_e32 v7, 0xbf167918, v46
	v_fmac_f32_e32 v12, 0x3f167918, v46
	;; [unrolled: 1-line block ×6, first 2 shown]
	v_add_f32_e32 v2, v27, v29
	v_fmac_f32_e32 v5, 0x3f167918, v4
	v_fmac_f32_e32 v26, 0xbf167918, v4
	v_fmac_f32_e32 v5, 0x3e9e377a, v2
	v_fmac_f32_e32 v26, 0x3e9e377a, v2
	v_mov_b32_e32 v2, v13
	v_fmac_f32_e32 v2, 0xbf737871, v4
	v_fmac_f32_e32 v13, 0x3f737871, v4
	v_add_f32_e32 v1, v1, v9
	v_fmac_f32_e32 v2, 0x3f167918, v0
	v_fmac_f32_e32 v13, 0xbf167918, v0
	v_fmac_f32_e32 v2, 0x3e9e377a, v1
	v_fmac_f32_e32 v13, 0x3e9e377a, v1
	v_mul_f32_e32 v28, 0xbf737871, v2
	v_mul_f32_e32 v29, 0x3e9e377a, v2
	;; [unrolled: 1-line block ×7, first 2 shown]
	v_fmac_f32_e32 v2, 0xbe9e377a, v12
	v_fmac_f32_e32 v0, 0x3f737871, v12
	;; [unrolled: 1-line block ×7, first 2 shown]
	v_mul_f32_e32 v38, 0xbf4f1bbd, v26
	v_add_f32_e32 v1, v19, v0
	v_sub_f32_e32 v3, v19, v0
	v_add_f32_e32 v0, v6, v2
	v_sub_f32_e32 v2, v6, v2
	;; [unrolled: 2-line block ×4, first 2 shown]
	v_mad_u32_u24 v34, v22, s0, v20
	v_fmac_f32_e32 v38, 0x3f167918, v21
	v_add_f32_e32 v5, v11, v17
	v_sub_f32_e32 v7, v11, v17
	v_add_f32_e32 v8, v37, v14
	v_add_f32_e32 v9, v35, v27
	v_sub_f32_e32 v10, v37, v14
	v_sub_f32_e32 v11, v35, v27
	v_add_f32_e32 v12, v18, v28
	v_add_f32_e32 v13, v15, v29
	v_sub_f32_e32 v14, v18, v28
	v_add_u32_e32 v18, v34, v31
	v_sub_f32_e32 v15, v15, v29
	v_add_f32_e32 v17, v33, v38
	v_sub_f32_e32 v27, v33, v38
	s_barrier
	ds_write2_b64 v18, v[4:5], v[8:9] offset1:1
	ds_write2_b64 v18, v[12:13], v[0:1] offset0:2 offset1:3
	ds_write2_b64 v18, v[16:17], v[6:7] offset0:4 offset1:5
	ds_write2_b64 v18, v[10:11], v[14:15] offset0:6 offset1:7
	ds_write2_b64 v18, v[2:3], v[26:27] offset0:8 offset1:9
	s_waitcnt lgkmcnt(0)
	s_barrier
	ds_read_b64 v[28:29], v32
	ds_read2_b64 v[18:21], v23 offset0:90 offset1:117
	ds_read2_b64 v[6:9], v23 offset0:144 offset1:180
	ds_read2_b64 v[2:5], v23 offset0:27 offset1:54
	ds_read2_b64 v[10:13], v23 offset0:207 offset1:234
	v_cmp_gt_u32_e64 s[0:1], 9, v22
                                        ; implicit-def: $vgpr1
                                        ; implicit-def: $vgpr17
	s_and_saveexec_b64 s[2:3], s[0:1]
	s_cbranch_execz .LBB0_19
; %bb.18:
	ds_read2_b64 v[14:17], v23 offset0:81 offset1:171
	ds_read_b64 v[0:1], v23 offset:2088
	s_waitcnt lgkmcnt(1)
	v_mov_b32_e32 v27, v15
	v_mov_b32_e32 v26, v14
.LBB0_19:
	s_or_b64 exec, exec, s[2:3]
	s_movk_i32 s2, 0xcd
	v_mul_lo_u16_sdwa v14, v22, s2 dst_sel:DWORD dst_unused:UNUSED_PAD src0_sel:BYTE_0 src1_sel:DWORD
	v_lshrrev_b16_e32 v53, 11, v14
	v_add_u32_e32 v35, 27, v22
	v_mul_lo_u16_e32 v14, 10, v53
	v_sub_u16_e32 v54, v22, v14
	v_mov_b32_e32 v15, 4
	v_mul_lo_u16_sdwa v33, v35, s2 dst_sel:DWORD dst_unused:UNUSED_PAD src0_sel:BYTE_0 src1_sel:DWORD
	v_lshlrev_b32_sdwa v14, v15, v54 dst_sel:DWORD dst_unused:UNUSED_PAD src0_sel:DWORD src1_sel:BYTE_0
	v_lshrrev_b16_e32 v55, 11, v33
	global_load_dwordx4 v[37:40], v14, s[8:9]
	v_mul_lo_u16_e32 v14, 10, v55
	v_sub_u16_e32 v56, v35, v14
	v_lshlrev_b32_sdwa v14, v15, v56 dst_sel:DWORD dst_unused:UNUSED_PAD src0_sel:DWORD src1_sel:BYTE_0
	v_add_u32_e32 v36, 54, v22
	global_load_dwordx4 v[41:44], v14, s[8:9]
	v_mul_lo_u16_sdwa v14, v36, s2 dst_sel:DWORD dst_unused:UNUSED_PAD src0_sel:BYTE_0 src1_sel:DWORD
	v_lshrrev_b16_e32 v57, 11, v14
	v_mul_lo_u16_e32 v14, 10, v57
	v_sub_u16_e32 v58, v36, v14
	v_add_u32_e32 v33, 0x51, v22
	v_lshlrev_b32_sdwa v14, v15, v58 dst_sel:DWORD dst_unused:UNUSED_PAD src0_sel:DWORD src1_sel:BYTE_0
	global_load_dwordx4 v[45:48], v14, s[8:9]
	v_mul_lo_u16_sdwa v14, v33, s2 dst_sel:DWORD dst_unused:UNUSED_PAD src0_sel:BYTE_0 src1_sel:DWORD
	v_lshrrev_b16_e32 v14, 11, v14
	v_mul_lo_u16_e32 v14, 10, v14
	v_sub_u16_e32 v14, v33, v14
	v_lshlrev_b32_sdwa v15, v15, v14 dst_sel:DWORD dst_unused:UNUSED_PAD src0_sel:DWORD src1_sel:BYTE_0
	global_load_dwordx4 v[49:52], v15, s[8:9]
	s_movk_i32 s2, 0xf0
	s_waitcnt vmcnt(0) lgkmcnt(0)
	s_barrier
	v_mul_f32_e32 v59, v40, v9
	v_mul_f32_e32 v40, v40, v8
	;; [unrolled: 1-line block ×4, first 2 shown]
	v_fmac_f32_e32 v59, v39, v8
	v_mul_f32_e32 v60, v42, v21
	v_fma_f32 v8, v39, v9, -v40
	v_mul_f32_e32 v9, v42, v20
	v_fmac_f32_e32 v15, v37, v18
	v_fma_f32 v18, v37, v19, -v38
	v_mul_f32_e32 v19, v44, v11
	v_mul_f32_e32 v37, v44, v10
	;; [unrolled: 1-line block ×3, first 2 shown]
	v_fmac_f32_e32 v60, v41, v20
	v_fma_f32 v9, v41, v21, -v9
	v_mul_f32_e32 v20, v46, v6
	v_mul_f32_e32 v21, v48, v13
	v_fmac_f32_e32 v19, v43, v10
	v_mul_f32_e32 v41, v1, v52
	v_fma_f32 v10, v43, v11, -v37
	v_mul_f32_e32 v37, v0, v52
	v_fmac_f32_e32 v38, v45, v6
	v_fmac_f32_e32 v41, v0, v51
	v_add_f32_e32 v0, v28, v15
	v_mul_f32_e32 v39, v48, v12
	v_mul_f32_e32 v40, v17, v50
	;; [unrolled: 1-line block ×3, first 2 shown]
	v_fma_f32 v6, v45, v7, -v20
	v_fmac_f32_e32 v21, v47, v12
	v_fma_f32 v42, v1, v51, -v37
	v_add_f32_e32 v1, v15, v59
	v_add_f32_e32 v12, v18, v8
	v_sub_f32_e32 v37, v15, v59
	v_add_f32_e32 v15, v2, v60
	v_add_f32_e32 v7, v0, v59
	;; [unrolled: 1-line block ×3, first 2 shown]
	v_fma_f32 v13, v47, v13, -v39
	v_fmac_f32_e32 v40, v16, v49
	v_fma_f32 v39, v17, v49, -v11
	v_sub_f32_e32 v20, v18, v8
	v_add_f32_e32 v11, v29, v18
	v_add_f32_e32 v16, v60, v19
	v_sub_f32_e32 v43, v9, v10
	v_add_f32_e32 v17, v3, v9
	v_add_f32_e32 v18, v9, v10
	v_sub_f32_e32 v44, v60, v19
	v_fmac_f32_e32 v29, -0.5, v12
	v_add_f32_e32 v9, v15, v19
	v_add_f32_e32 v19, v0, v21
	;; [unrolled: 1-line block ×4, first 2 shown]
	v_fma_f32 v11, -0.5, v16, v2
	v_mov_b32_e32 v16, v29
	v_fma_f32 v4, -0.5, v0, v4
	v_fma_f32 v28, -0.5, v1, v28
	v_fmac_f32_e32 v29, 0xbf5db3d7, v37
	v_fmac_f32_e32 v16, 0x3f5db3d7, v37
	v_sub_f32_e32 v0, v6, v13
	v_mov_b32_e32 v37, v4
	v_mov_b32_e32 v15, v28
	v_fmac_f32_e32 v37, 0xbf5db3d7, v0
	v_fmac_f32_e32 v4, 0x3f5db3d7, v0
	v_add_f32_e32 v0, v5, v6
	v_fmac_f32_e32 v28, 0x3f5db3d7, v20
	v_fmac_f32_e32 v15, 0xbf5db3d7, v20
	v_add_f32_e32 v20, v0, v13
	v_add_f32_e32 v0, v6, v13
	v_fmac_f32_e32 v5, -0.5, v0
	v_sub_f32_e32 v0, v38, v21
	v_mov_b32_e32 v38, v5
	v_add_f32_e32 v1, v40, v41
	v_fmac_f32_e32 v38, 0x3f5db3d7, v0
	v_fmac_f32_e32 v5, 0xbf5db3d7, v0
	v_add_f32_e32 v0, v26, v40
	v_fmac_f32_e32 v26, -0.5, v1
	v_fma_f32 v12, -0.5, v18, v3
	v_sub_f32_e32 v1, v39, v42
	v_mov_b32_e32 v2, v26
	v_add_f32_e32 v3, v39, v42
	v_fmac_f32_e32 v2, 0xbf5db3d7, v1
	v_fmac_f32_e32 v26, 0x3f5db3d7, v1
	v_add_f32_e32 v1, v27, v39
	v_fmac_f32_e32 v27, -0.5, v3
	v_sub_f32_e32 v6, v40, v41
	v_mov_b32_e32 v3, v27
	v_fmac_f32_e32 v3, 0x3f5db3d7, v6
	v_fmac_f32_e32 v27, 0xbf5db3d7, v6
	v_mov_b32_e32 v6, 3
	v_mad_u32_u24 v13, v53, s2, 0
	v_lshlrev_b32_sdwa v21, v6, v54 dst_sel:DWORD dst_unused:UNUSED_PAD src0_sel:DWORD src1_sel:BYTE_0
	v_add3_u32 v13, v13, v21, v31
	v_add_f32_e32 v10, v17, v10
	v_mov_b32_e32 v17, v11
	v_mov_b32_e32 v18, v12
	ds_write2_b64 v13, v[7:8], v[15:16] offset1:10
	ds_write_b64 v13, v[28:29] offset:160
	v_mad_u32_u24 v7, v55, s2, 0
	v_lshlrev_b32_sdwa v8, v6, v56 dst_sel:DWORD dst_unused:UNUSED_PAD src0_sel:DWORD src1_sel:BYTE_0
	v_fmac_f32_e32 v17, 0xbf5db3d7, v43
	v_fmac_f32_e32 v18, 0x3f5db3d7, v44
	v_add3_u32 v7, v7, v8, v31
	v_fmac_f32_e32 v11, 0x3f5db3d7, v43
	v_fmac_f32_e32 v12, 0xbf5db3d7, v44
	ds_write2_b64 v7, v[9:10], v[17:18] offset1:10
	ds_write_b64 v7, v[11:12] offset:160
	v_mad_u32_u24 v7, v57, s2, 0
	v_lshlrev_b32_sdwa v8, v6, v58 dst_sel:DWORD dst_unused:UNUSED_PAD src0_sel:DWORD src1_sel:BYTE_0
	v_add_f32_e32 v0, v0, v41
	v_add_f32_e32 v1, v1, v42
	v_add3_u32 v7, v7, v8, v31
	ds_write2_b64 v7, v[19:20], v[37:38] offset1:10
	ds_write_b64 v7, v[4:5] offset:160
	s_and_saveexec_b64 s[2:3], s[0:1]
	s_cbranch_execz .LBB0_21
; %bb.20:
	v_lshlrev_b32_sdwa v4, v6, v14 dst_sel:DWORD dst_unused:UNUSED_PAD src0_sel:DWORD src1_sel:BYTE_0
	v_add3_u32 v4, 0, v4, v31
	ds_write2_b64 v4, v[0:1], v[2:3] offset0:240 offset1:250
	ds_write_b64 v4, v[26:27] offset:2080
.LBB0_21:
	s_or_b64 exec, exec, s[2:3]
	s_waitcnt lgkmcnt(0)
	s_barrier
	ds_read_b64 v[20:21], v32
	ds_read2_b64 v[16:19], v23 offset0:90 offset1:117
	ds_read2_b64 v[12:15], v23 offset0:144 offset1:180
	;; [unrolled: 1-line block ×4, first 2 shown]
	s_and_saveexec_b64 s[2:3], s[0:1]
	s_cbranch_execz .LBB0_23
; %bb.22:
	ds_read2_b64 v[0:3], v23 offset0:81 offset1:171
	ds_read_b64 v[26:27], v23 offset:2088
.LBB0_23:
	s_or_b64 exec, exec, s[2:3]
	v_lshlrev_b32_e32 v42, 1, v22
	v_mov_b32_e32 v43, 0
	v_lshlrev_b64 v[28:29], 3, v[42:43]
	v_mov_b32_e32 v37, s9
	v_add_co_u32_e64 v28, s[2:3], s8, v28
	v_addc_co_u32_e64 v29, s[2:3], v37, v29, s[2:3]
	v_add_u32_e32 v42, -3, v22
	v_cmp_gt_u32_e64 s[2:3], 3, v22
	v_cndmask_b32_e64 v54, v42, v35, s[2:3]
	v_lshlrev_b32_e32 v42, 1, v54
	v_lshlrev_b64 v[42:43], 3, v[42:43]
	v_mov_b32_e32 v50, 4
	v_add_co_u32_e64 v42, s[2:3], s8, v42
	v_addc_co_u32_e64 v43, s[2:3], v37, v43, s[2:3]
	s_movk_i32 s2, 0x89
	v_mul_lo_u16_sdwa v37, v36, s2 dst_sel:DWORD dst_unused:UNUSED_PAD src0_sel:BYTE_0 src1_sel:DWORD
	v_lshrrev_b16_e32 v55, 12, v37
	v_mul_lo_u16_e32 v37, 30, v55
	v_sub_u16_e32 v56, v36, v37
	v_lshlrev_b32_sdwa v37, v50, v56 dst_sel:DWORD dst_unused:UNUSED_PAD src0_sel:DWORD src1_sel:BYTE_0
	global_load_dwordx4 v[38:41], v[28:29], off offset:160
	global_load_dwordx4 v[46:49], v37, s[8:9] offset:160
	v_mul_lo_u16_sdwa v37, v33, s2 dst_sel:DWORD dst_unused:UNUSED_PAD src0_sel:BYTE_0 src1_sel:DWORD
	v_lshrrev_b16_e32 v37, 12, v37
	v_mul_lo_u16_e32 v37, 30, v37
	global_load_dwordx4 v[42:45], v[42:43], off offset:160
	v_sub_u16_e32 v37, v33, v37
	v_lshlrev_b32_sdwa v50, v50, v37 dst_sel:DWORD dst_unused:UNUSED_PAD src0_sel:DWORD src1_sel:BYTE_0
	global_load_dwordx4 v[50:53], v50, s[8:9] offset:160
	s_waitcnt vmcnt(0) lgkmcnt(0)
	s_barrier
	v_cmp_lt_u32_e64 s[2:3], 2, v22
	s_movk_i32 s4, 0x2d0
	v_mul_f32_e32 v57, v39, v17
	v_mul_f32_e32 v39, v39, v16
	;; [unrolled: 1-line block ×4, first 2 shown]
	v_fmac_f32_e32 v57, v38, v16
	v_fma_f32 v16, v38, v17, -v39
	v_fmac_f32_e32 v58, v40, v14
	v_fma_f32 v14, v40, v15, -v41
	v_mul_f32_e32 v17, v43, v19
	v_mul_f32_e32 v15, v43, v18
	;; [unrolled: 1-line block ×6, first 2 shown]
	v_fmac_f32_e32 v17, v42, v18
	v_fma_f32 v15, v42, v19, -v15
	v_mul_f32_e32 v18, v49, v10
	v_fma_f32 v39, v44, v9, -v39
	v_fma_f32 v41, v46, v13, -v41
	v_add_f32_e32 v13, v16, v14
	v_mul_f32_e32 v43, v49, v11
	v_mul_f32_e32 v42, v3, v51
	;; [unrolled: 1-line block ×3, first 2 shown]
	v_fmac_f32_e32 v38, v44, v8
	v_fmac_f32_e32 v40, v46, v12
	v_add_f32_e32 v12, v21, v16
	v_fma_f32 v46, v48, v11, -v18
	v_fmac_f32_e32 v21, -0.5, v13
	v_sub_f32_e32 v18, v15, v39
	v_add_f32_e32 v13, v5, v15
	v_add_f32_e32 v15, v15, v39
	v_mul_f32_e32 v8, v26, v53
	v_add_f32_e32 v9, v20, v57
	v_fmac_f32_e32 v43, v48, v10
	v_fmac_f32_e32 v42, v2, v50
	v_fma_f32 v48, v3, v50, -v19
	v_add_f32_e32 v2, v4, v17
	v_add_f32_e32 v3, v17, v38
	v_fma_f32 v15, -0.5, v15, v5
	v_sub_f32_e32 v47, v16, v14
	v_sub_f32_e32 v16, v57, v58
	v_fma_f32 v49, v27, v52, -v8
	v_add_f32_e32 v8, v9, v58
	v_add_f32_e32 v9, v12, v14
	v_mov_b32_e32 v11, v21
	v_add_f32_e32 v12, v2, v38
	v_fma_f32 v14, -0.5, v3, v4
	v_sub_f32_e32 v2, v17, v38
	v_mov_b32_e32 v17, v15
	v_fmac_f32_e32 v21, 0xbf5db3d7, v16
	v_fmac_f32_e32 v11, 0x3f5db3d7, v16
	v_mov_b32_e32 v16, v14
	v_fmac_f32_e32 v17, 0x3f5db3d7, v2
	v_fmac_f32_e32 v15, 0xbf5db3d7, v2
	v_add_f32_e32 v2, v6, v40
	v_fmac_f32_e32 v14, 0x3f5db3d7, v18
	v_fmac_f32_e32 v16, 0xbf5db3d7, v18
	v_add_f32_e32 v18, v2, v43
	v_add_f32_e32 v2, v40, v43
	v_mul_f32_e32 v45, v27, v53
	v_add_f32_e32 v44, v57, v58
	v_fma_f32 v6, -0.5, v2, v6
	v_fmac_f32_e32 v45, v26, v52
	v_fma_f32 v20, -0.5, v44, v20
	v_sub_f32_e32 v2, v41, v46
	v_mov_b32_e32 v26, v6
	v_mov_b32_e32 v10, v20
	v_fmac_f32_e32 v26, 0xbf5db3d7, v2
	v_fmac_f32_e32 v6, 0x3f5db3d7, v2
	v_add_f32_e32 v2, v7, v41
	v_fmac_f32_e32 v10, 0xbf5db3d7, v47
	v_add_f32_e32 v19, v2, v46
	v_add_f32_e32 v2, v41, v46
	v_fmac_f32_e32 v20, 0x3f5db3d7, v47
	v_fmac_f32_e32 v7, -0.5, v2
	ds_write2_b64 v23, v[8:9], v[10:11] offset1:30
	ds_write_b64 v23, v[20:21] offset:480
	v_mov_b32_e32 v8, 0x2d0
	v_sub_f32_e32 v2, v40, v43
	v_mov_b32_e32 v27, v7
	v_add_f32_e32 v3, v42, v45
	v_cndmask_b32_e64 v8, 0, v8, s[2:3]
	v_fmac_f32_e32 v27, 0x3f5db3d7, v2
	v_fmac_f32_e32 v7, 0xbf5db3d7, v2
	v_add_f32_e32 v2, v0, v42
	v_fmac_f32_e32 v0, -0.5, v3
	v_add_u32_e32 v8, 0, v8
	v_lshlrev_b32_e32 v9, 3, v54
	v_add_f32_e32 v13, v13, v39
	v_sub_f32_e32 v3, v48, v49
	v_mov_b32_e32 v4, v0
	v_add_f32_e32 v5, v48, v49
	v_add3_u32 v8, v8, v9, v31
	v_fmac_f32_e32 v4, 0xbf5db3d7, v3
	v_fmac_f32_e32 v0, 0x3f5db3d7, v3
	v_add_f32_e32 v3, v1, v48
	v_fmac_f32_e32 v1, -0.5, v5
	ds_write2_b64 v8, v[12:13], v[16:17] offset1:30
	ds_write_b64 v8, v[14:15] offset:480
	v_mov_b32_e32 v8, 3
	v_sub_f32_e32 v38, v42, v45
	v_mov_b32_e32 v5, v1
	v_mad_u32_u24 v9, v55, s4, 0
	v_lshlrev_b32_sdwa v10, v8, v56 dst_sel:DWORD dst_unused:UNUSED_PAD src0_sel:DWORD src1_sel:BYTE_0
	v_add_f32_e32 v2, v2, v45
	v_add_f32_e32 v3, v3, v49
	v_fmac_f32_e32 v5, 0x3f5db3d7, v38
	v_fmac_f32_e32 v1, 0xbf5db3d7, v38
	v_add3_u32 v9, v9, v10, v31
	ds_write2_b64 v9, v[18:19], v[26:27] offset1:30
	ds_write_b64 v9, v[6:7] offset:480
	s_and_saveexec_b64 s[2:3], s[0:1]
	s_cbranch_execz .LBB0_25
; %bb.24:
	v_lshlrev_b32_sdwa v6, v8, v37 dst_sel:DWORD dst_unused:UNUSED_PAD src0_sel:DWORD src1_sel:BYTE_0
	v_add3_u32 v6, 0, v6, v31
	ds_write2_b64 v6, v[2:3], v[4:5] offset0:180 offset1:210
	ds_write_b64 v6, v[0:1] offset:1920
.LBB0_25:
	s_or_b64 exec, exec, s[2:3]
	s_waitcnt lgkmcnt(0)
	s_barrier
	ds_read_b64 v[26:27], v32
	ds_read2_b64 v[18:21], v23 offset0:90 offset1:117
	ds_read2_b64 v[10:13], v23 offset0:144 offset1:180
	;; [unrolled: 1-line block ×4, first 2 shown]
	s_and_saveexec_b64 s[2:3], s[0:1]
	s_cbranch_execz .LBB0_27
; %bb.26:
	ds_read2_b64 v[2:5], v23 offset0:81 offset1:171
	ds_read_b64 v[0:1], v23 offset:2088
.LBB0_27:
	s_or_b64 exec, exec, s[2:3]
	global_load_dwordx4 v[37:40], v[28:29], off offset:640
	v_lshlrev_b32_e32 v28, 1, v35
	v_mov_b32_e32 v29, 0
	v_lshlrev_b64 v[41:42], 3, v[28:29]
	v_lshlrev_b32_e32 v28, 1, v36
	v_mov_b32_e32 v32, s9
	v_add_co_u32_e64 v41, s[2:3], s8, v41
	v_lshlrev_b64 v[35:36], 3, v[28:29]
	v_addc_co_u32_e64 v42, s[2:3], v32, v42, s[2:3]
	v_add_co_u32_e64 v35, s[2:3], s8, v35
	global_load_dwordx4 v[41:44], v[41:42], off offset:640
	v_addc_co_u32_e64 v36, s[2:3], v32, v36, s[2:3]
	global_load_dwordx4 v[45:48], v[35:36], off offset:640
	v_mul_i32_i24_e32 v28, 0xffffffb8, v22
	v_add3_u32 v28, v34, v28, v31
	s_waitcnt vmcnt(0) lgkmcnt(0)
	s_barrier
	v_mul_f32_e32 v31, v38, v19
	v_mul_f32_e32 v32, v38, v18
	v_mul_f32_e32 v35, v40, v12
	v_mul_f32_e32 v34, v40, v13
	v_fmac_f32_e32 v31, v37, v18
	v_fma_f32 v18, v37, v19, -v32
	v_fma_f32 v13, v39, v13, -v35
	v_fmac_f32_e32 v34, v39, v12
	v_add_f32_e32 v12, v26, v31
	v_sub_f32_e32 v32, v18, v13
	v_add_f32_e32 v35, v27, v18
	v_add_f32_e32 v18, v18, v13
	v_add_f32_e32 v19, v31, v34
	v_sub_f32_e32 v31, v31, v34
	v_add_f32_e32 v12, v12, v34
	v_add_f32_e32 v13, v35, v13
	v_fmac_f32_e32 v27, -0.5, v18
	v_mul_f32_e32 v34, v42, v21
	v_mul_f32_e32 v35, v42, v20
	;; [unrolled: 1-line block ×4, first 2 shown]
	v_fma_f32 v26, -0.5, v19, v26
	v_mov_b32_e32 v19, v27
	v_fmac_f32_e32 v34, v41, v20
	v_fma_f32 v20, v41, v21, -v35
	v_fmac_f32_e32 v36, v43, v14
	v_fma_f32 v14, v43, v15, -v37
	v_mul_f32_e32 v15, v46, v11
	v_mul_f32_e32 v21, v46, v10
	;; [unrolled: 1-line block ×4, first 2 shown]
	v_mov_b32_e32 v18, v26
	v_fmac_f32_e32 v27, 0xbf5db3d7, v31
	v_fmac_f32_e32 v19, 0x3f5db3d7, v31
	;; [unrolled: 1-line block ×3, first 2 shown]
	v_fma_f32 v21, v45, v11, -v21
	v_fmac_f32_e32 v35, v47, v16
	v_fma_f32 v16, v47, v17, -v37
	v_add_f32_e32 v11, v34, v36
	v_sub_f32_e32 v17, v20, v14
	v_add_f32_e32 v31, v7, v20
	v_add_f32_e32 v20, v20, v14
	v_fmac_f32_e32 v26, 0x3f5db3d7, v32
	v_fmac_f32_e32 v18, 0xbf5db3d7, v32
	v_add_f32_e32 v10, v6, v34
	v_sub_f32_e32 v32, v34, v36
	v_fma_f32 v34, -0.5, v11, v6
	v_add_f32_e32 v11, v31, v14
	v_fma_f32 v14, -0.5, v20, v7
	v_add_f32_e32 v7, v15, v35
	v_sub_f32_e32 v20, v21, v16
	v_add_f32_e32 v31, v9, v21
	v_add_f32_e32 v21, v21, v16
	;; [unrolled: 1-line block ×4, first 2 shown]
	v_mov_b32_e32 v36, v34
	v_mov_b32_e32 v37, v14
	v_fma_f32 v8, -0.5, v7, v8
	v_fmac_f32_e32 v9, -0.5, v21
	v_sub_f32_e32 v15, v15, v35
	v_fmac_f32_e32 v34, 0x3f5db3d7, v17
	v_fmac_f32_e32 v14, 0xbf5db3d7, v32
	v_add_f32_e32 v7, v31, v16
	v_fmac_f32_e32 v36, 0xbf5db3d7, v17
	v_fmac_f32_e32 v37, 0x3f5db3d7, v32
	v_mov_b32_e32 v16, v8
	v_mov_b32_e32 v17, v9
	ds_write2_b64 v23, v[18:19], v[26:27] offset0:90 offset1:180
	ds_write2_b64 v23, v[12:13], v[10:11] offset1:27
	ds_write2_b32 v28, v36, v37 offset0:234 offset1:235
	v_add_u32_e32 v10, 0x400, v28
	v_add_f32_e32 v6, v6, v35
	v_fmac_f32_e32 v8, 0x3f5db3d7, v20
	v_fmac_f32_e32 v9, 0xbf5db3d7, v15
	;; [unrolled: 1-line block ×4, first 2 shown]
	ds_write2_b32 v10, v34, v14 offset0:158 offset1:159
	ds_write_b64 v23, v[6:7] offset:432
	ds_write2_b32 v10, v16, v17 offset0:32 offset1:33
	ds_write2_b32 v10, v8, v9 offset0:212 offset1:213
	s_and_saveexec_b64 s[2:3], s[0:1]
	s_cbranch_execz .LBB0_29
; %bb.28:
	v_add_u32_e32 v6, -9, v22
	v_cndmask_b32_e64 v6, v6, v33, s[0:1]
	v_lshlrev_b32_e32 v28, 1, v6
	v_lshlrev_b64 v[6:7], 3, v[28:29]
	v_mov_b32_e32 v8, s9
	v_add_co_u32_e64 v6, s[0:1], s8, v6
	v_addc_co_u32_e64 v7, s[0:1], v8, v7, s[0:1]
	global_load_dwordx4 v[6:9], v[6:7], off offset:640
	s_waitcnt vmcnt(0)
	v_mul_f32_e32 v10, v4, v7
	v_mul_f32_e32 v11, v0, v9
	;; [unrolled: 1-line block ×4, first 2 shown]
	v_fma_f32 v5, v5, v6, -v10
	v_fma_f32 v10, v1, v8, -v11
	v_fmac_f32_e32 v7, v4, v6
	v_fmac_f32_e32 v9, v0, v8
	v_add_f32_e32 v0, v5, v10
	v_add_f32_e32 v8, v7, v9
	v_sub_f32_e32 v6, v7, v9
	v_add_f32_e32 v4, v3, v5
	v_sub_f32_e32 v11, v5, v10
	v_add_f32_e32 v5, v2, v7
	v_fma_f32 v1, -0.5, v0, v3
	v_fma_f32 v0, -0.5, v8, v2
	v_add_f32_e32 v3, v4, v10
	v_add_f32_e32 v2, v5, v9
	v_mov_b32_e32 v5, v1
	v_fmac_f32_e32 v1, 0x3f5db3d7, v6
	v_mov_b32_e32 v4, v0
	v_fmac_f32_e32 v0, 0xbf5db3d7, v11
	v_fmac_f32_e32 v5, 0xbf5db3d7, v6
	;; [unrolled: 1-line block ×3, first 2 shown]
	ds_write2_b64 v23, v[2:3], v[0:1] offset0:81 offset1:171
	ds_write_b64 v23, v[4:5] offset:2088
.LBB0_29:
	s_or_b64 exec, exec, s[2:3]
	s_waitcnt lgkmcnt(0)
	s_barrier
	s_and_saveexec_b64 s[0:1], vcc
	s_cbranch_execz .LBB0_31
; %bb.30:
	v_lshl_add_u32 v6, v22, 3, v30
	v_mov_b32_e32 v23, 0
	ds_read2_b64 v[0:3], v6 offset1:27
	v_mov_b32_e32 v4, s13
	v_add_co_u32_e32 v7, vcc, s12, v24
	v_addc_co_u32_e32 v8, vcc, v4, v25, vcc
	v_lshlrev_b64 v[4:5], 3, v[22:23]
	v_add_co_u32_e32 v4, vcc, v7, v4
	v_addc_co_u32_e32 v5, vcc, v8, v5, vcc
	s_waitcnt lgkmcnt(0)
	global_store_dwordx2 v[4:5], v[0:1], off
	v_add_u32_e32 v0, 27, v22
	v_mov_b32_e32 v1, v23
	v_lshlrev_b64 v[0:1], 3, v[0:1]
	v_add_u32_e32 v4, 54, v22
	v_add_co_u32_e32 v0, vcc, v7, v0
	v_addc_co_u32_e32 v1, vcc, v8, v1, vcc
	global_store_dwordx2 v[0:1], v[2:3], off
	v_mov_b32_e32 v5, v23
	ds_read2_b64 v[0:3], v6 offset0:54 offset1:81
	v_lshlrev_b64 v[4:5], 3, v[4:5]
	v_add_co_u32_e32 v4, vcc, v7, v4
	v_addc_co_u32_e32 v5, vcc, v8, v5, vcc
	s_waitcnt lgkmcnt(0)
	global_store_dwordx2 v[4:5], v[0:1], off
	v_add_u32_e32 v0, 0x51, v22
	v_mov_b32_e32 v1, v23
	v_lshlrev_b64 v[0:1], 3, v[0:1]
	v_add_u32_e32 v4, 0x6c, v22
	v_add_co_u32_e32 v0, vcc, v7, v0
	v_addc_co_u32_e32 v1, vcc, v8, v1, vcc
	global_store_dwordx2 v[0:1], v[2:3], off
	v_mov_b32_e32 v5, v23
	ds_read2_b64 v[0:3], v6 offset0:108 offset1:135
	;; [unrolled: 14-line block ×4, first 2 shown]
	v_lshlrev_b64 v[4:5], 3, v[4:5]
	v_add_u32_e32 v22, 0xf3, v22
	v_add_co_u32_e32 v4, vcc, v7, v4
	v_addc_co_u32_e32 v5, vcc, v8, v5, vcc
	s_waitcnt lgkmcnt(0)
	global_store_dwordx2 v[4:5], v[0:1], off
	v_lshlrev_b64 v[0:1], 3, v[22:23]
	v_add_co_u32_e32 v0, vcc, v7, v0
	v_addc_co_u32_e32 v1, vcc, v8, v1, vcc
	global_store_dwordx2 v[0:1], v[2:3], off
.LBB0_31:
	s_endpgm
	.section	.rodata,"a",@progbits
	.p2align	6, 0x0
	.amdhsa_kernel fft_rtc_back_len270_factors_10_3_3_3_wgs_108_tpt_27_halfLds_sp_ip_CI_unitstride_sbrr_C2R_dirReg
		.amdhsa_group_segment_fixed_size 0
		.amdhsa_private_segment_fixed_size 0
		.amdhsa_kernarg_size 88
		.amdhsa_user_sgpr_count 6
		.amdhsa_user_sgpr_private_segment_buffer 1
		.amdhsa_user_sgpr_dispatch_ptr 0
		.amdhsa_user_sgpr_queue_ptr 0
		.amdhsa_user_sgpr_kernarg_segment_ptr 1
		.amdhsa_user_sgpr_dispatch_id 0
		.amdhsa_user_sgpr_flat_scratch_init 0
		.amdhsa_user_sgpr_private_segment_size 0
		.amdhsa_uses_dynamic_stack 0
		.amdhsa_system_sgpr_private_segment_wavefront_offset 0
		.amdhsa_system_sgpr_workgroup_id_x 1
		.amdhsa_system_sgpr_workgroup_id_y 0
		.amdhsa_system_sgpr_workgroup_id_z 0
		.amdhsa_system_sgpr_workgroup_info 0
		.amdhsa_system_vgpr_workitem_id 0
		.amdhsa_next_free_vgpr 61
		.amdhsa_next_free_sgpr 22
		.amdhsa_reserve_vcc 1
		.amdhsa_reserve_flat_scratch 0
		.amdhsa_float_round_mode_32 0
		.amdhsa_float_round_mode_16_64 0
		.amdhsa_float_denorm_mode_32 3
		.amdhsa_float_denorm_mode_16_64 3
		.amdhsa_dx10_clamp 1
		.amdhsa_ieee_mode 1
		.amdhsa_fp16_overflow 0
		.amdhsa_exception_fp_ieee_invalid_op 0
		.amdhsa_exception_fp_denorm_src 0
		.amdhsa_exception_fp_ieee_div_zero 0
		.amdhsa_exception_fp_ieee_overflow 0
		.amdhsa_exception_fp_ieee_underflow 0
		.amdhsa_exception_fp_ieee_inexact 0
		.amdhsa_exception_int_div_zero 0
	.end_amdhsa_kernel
	.text
.Lfunc_end0:
	.size	fft_rtc_back_len270_factors_10_3_3_3_wgs_108_tpt_27_halfLds_sp_ip_CI_unitstride_sbrr_C2R_dirReg, .Lfunc_end0-fft_rtc_back_len270_factors_10_3_3_3_wgs_108_tpt_27_halfLds_sp_ip_CI_unitstride_sbrr_C2R_dirReg
                                        ; -- End function
	.section	.AMDGPU.csdata,"",@progbits
; Kernel info:
; codeLenInByte = 6372
; NumSgprs: 26
; NumVgprs: 61
; ScratchSize: 0
; MemoryBound: 0
; FloatMode: 240
; IeeeMode: 1
; LDSByteSize: 0 bytes/workgroup (compile time only)
; SGPRBlocks: 3
; VGPRBlocks: 15
; NumSGPRsForWavesPerEU: 26
; NumVGPRsForWavesPerEU: 61
; Occupancy: 4
; WaveLimiterHint : 1
; COMPUTE_PGM_RSRC2:SCRATCH_EN: 0
; COMPUTE_PGM_RSRC2:USER_SGPR: 6
; COMPUTE_PGM_RSRC2:TRAP_HANDLER: 0
; COMPUTE_PGM_RSRC2:TGID_X_EN: 1
; COMPUTE_PGM_RSRC2:TGID_Y_EN: 0
; COMPUTE_PGM_RSRC2:TGID_Z_EN: 0
; COMPUTE_PGM_RSRC2:TIDIG_COMP_CNT: 0
	.type	__hip_cuid_5fb19b7d755c4671,@object ; @__hip_cuid_5fb19b7d755c4671
	.section	.bss,"aw",@nobits
	.globl	__hip_cuid_5fb19b7d755c4671
__hip_cuid_5fb19b7d755c4671:
	.byte	0                               ; 0x0
	.size	__hip_cuid_5fb19b7d755c4671, 1

	.ident	"AMD clang version 19.0.0git (https://github.com/RadeonOpenCompute/llvm-project roc-6.4.0 25133 c7fe45cf4b819c5991fe208aaa96edf142730f1d)"
	.section	".note.GNU-stack","",@progbits
	.addrsig
	.addrsig_sym __hip_cuid_5fb19b7d755c4671
	.amdgpu_metadata
---
amdhsa.kernels:
  - .args:
      - .actual_access:  read_only
        .address_space:  global
        .offset:         0
        .size:           8
        .value_kind:     global_buffer
      - .offset:         8
        .size:           8
        .value_kind:     by_value
      - .actual_access:  read_only
        .address_space:  global
        .offset:         16
        .size:           8
        .value_kind:     global_buffer
      - .actual_access:  read_only
        .address_space:  global
        .offset:         24
        .size:           8
        .value_kind:     global_buffer
      - .offset:         32
        .size:           8
        .value_kind:     by_value
      - .actual_access:  read_only
        .address_space:  global
        .offset:         40
        .size:           8
        .value_kind:     global_buffer
      - .actual_access:  read_only
        .address_space:  global
        .offset:         48
        .size:           8
        .value_kind:     global_buffer
      - .offset:         56
        .size:           4
        .value_kind:     by_value
      - .actual_access:  read_only
        .address_space:  global
        .offset:         64
        .size:           8
        .value_kind:     global_buffer
      - .actual_access:  read_only
        .address_space:  global
        .offset:         72
        .size:           8
        .value_kind:     global_buffer
      - .address_space:  global
        .offset:         80
        .size:           8
        .value_kind:     global_buffer
    .group_segment_fixed_size: 0
    .kernarg_segment_align: 8
    .kernarg_segment_size: 88
    .language:       OpenCL C
    .language_version:
      - 2
      - 0
    .max_flat_workgroup_size: 108
    .name:           fft_rtc_back_len270_factors_10_3_3_3_wgs_108_tpt_27_halfLds_sp_ip_CI_unitstride_sbrr_C2R_dirReg
    .private_segment_fixed_size: 0
    .sgpr_count:     26
    .sgpr_spill_count: 0
    .symbol:         fft_rtc_back_len270_factors_10_3_3_3_wgs_108_tpt_27_halfLds_sp_ip_CI_unitstride_sbrr_C2R_dirReg.kd
    .uniform_work_group_size: 1
    .uses_dynamic_stack: false
    .vgpr_count:     61
    .vgpr_spill_count: 0
    .wavefront_size: 64
amdhsa.target:   amdgcn-amd-amdhsa--gfx906
amdhsa.version:
  - 1
  - 2
...

	.end_amdgpu_metadata
